;; amdgpu-corpus repo=ROCm/rocFFT kind=compiled arch=gfx1201 opt=O3
	.text
	.amdgcn_target "amdgcn-amd-amdhsa--gfx1201"
	.amdhsa_code_object_version 6
	.protected	fft_rtc_back_len300_factors_10_10_3_wgs_60_tpt_30_halfLds_sp_op_CI_CI_unitstride_sbrr_R2C_dirReg ; -- Begin function fft_rtc_back_len300_factors_10_10_3_wgs_60_tpt_30_halfLds_sp_op_CI_CI_unitstride_sbrr_R2C_dirReg
	.globl	fft_rtc_back_len300_factors_10_10_3_wgs_60_tpt_30_halfLds_sp_op_CI_CI_unitstride_sbrr_R2C_dirReg
	.p2align	8
	.type	fft_rtc_back_len300_factors_10_10_3_wgs_60_tpt_30_halfLds_sp_op_CI_CI_unitstride_sbrr_R2C_dirReg,@function
fft_rtc_back_len300_factors_10_10_3_wgs_60_tpt_30_halfLds_sp_op_CI_CI_unitstride_sbrr_R2C_dirReg: ; @fft_rtc_back_len300_factors_10_10_3_wgs_60_tpt_30_halfLds_sp_op_CI_CI_unitstride_sbrr_R2C_dirReg
; %bb.0:
	s_clause 0x2
	s_load_b128 s[8:11], s[0:1], 0x0
	s_load_b128 s[4:7], s[0:1], 0x58
	;; [unrolled: 1-line block ×3, first 2 shown]
	v_mul_u32_u24_e32 v1, 0x889, v0
	v_mov_b32_e32 v3, 0
	s_delay_alu instid0(VALU_DEP_2) | instskip(SKIP_2) | instid1(VALU_DEP_4)
	v_lshrrev_b32_e32 v7, 16, v1
	v_mov_b32_e32 v1, 0
	v_mov_b32_e32 v2, 0
	;; [unrolled: 1-line block ×3, first 2 shown]
	s_delay_alu instid0(VALU_DEP_4) | instskip(SKIP_2) | instid1(VALU_DEP_1)
	v_lshl_add_u32 v5, ttmp9, 1, v7
	s_wait_kmcnt 0x0
	v_cmp_lt_u64_e64 s2, s[10:11], 2
	s_and_b32 vcc_lo, exec_lo, s2
	s_cbranch_vccnz .LBB0_8
; %bb.1:
	s_load_b64 s[2:3], s[0:1], 0x10
	v_mov_b32_e32 v1, 0
	v_mov_b32_e32 v2, 0
	s_add_nc_u64 s[16:17], s[14:15], 8
	s_add_nc_u64 s[18:19], s[12:13], 8
	s_mov_b64 s[20:21], 1
	s_delay_alu instid0(VALU_DEP_1)
	v_dual_mov_b32 v17, v2 :: v_dual_mov_b32 v16, v1
	s_wait_kmcnt 0x0
	s_add_nc_u64 s[22:23], s[2:3], 8
	s_mov_b32 s3, 0
.LBB0_2:                                ; =>This Inner Loop Header: Depth=1
	s_load_b64 s[24:25], s[22:23], 0x0
                                        ; implicit-def: $vgpr20_vgpr21
	s_mov_b32 s2, exec_lo
	s_wait_kmcnt 0x0
	v_or_b32_e32 v4, s25, v6
	s_delay_alu instid0(VALU_DEP_1)
	v_cmpx_ne_u64_e32 0, v[3:4]
	s_wait_alu 0xfffe
	s_xor_b32 s26, exec_lo, s2
	s_cbranch_execz .LBB0_4
; %bb.3:                                ;   in Loop: Header=BB0_2 Depth=1
	s_cvt_f32_u32 s2, s24
	s_cvt_f32_u32 s27, s25
	s_sub_nc_u64 s[30:31], 0, s[24:25]
	s_wait_alu 0xfffe
	s_delay_alu instid0(SALU_CYCLE_1) | instskip(SKIP_1) | instid1(SALU_CYCLE_2)
	s_fmamk_f32 s2, s27, 0x4f800000, s2
	s_wait_alu 0xfffe
	v_s_rcp_f32 s2, s2
	s_delay_alu instid0(TRANS32_DEP_1) | instskip(SKIP_1) | instid1(SALU_CYCLE_2)
	s_mul_f32 s2, s2, 0x5f7ffffc
	s_wait_alu 0xfffe
	s_mul_f32 s27, s2, 0x2f800000
	s_wait_alu 0xfffe
	s_delay_alu instid0(SALU_CYCLE_2) | instskip(SKIP_1) | instid1(SALU_CYCLE_2)
	s_trunc_f32 s27, s27
	s_wait_alu 0xfffe
	s_fmamk_f32 s2, s27, 0xcf800000, s2
	s_cvt_u32_f32 s29, s27
	s_wait_alu 0xfffe
	s_delay_alu instid0(SALU_CYCLE_1) | instskip(SKIP_1) | instid1(SALU_CYCLE_2)
	s_cvt_u32_f32 s28, s2
	s_wait_alu 0xfffe
	s_mul_u64 s[34:35], s[30:31], s[28:29]
	s_wait_alu 0xfffe
	s_mul_hi_u32 s37, s28, s35
	s_mul_i32 s36, s28, s35
	s_mul_hi_u32 s2, s28, s34
	s_mul_i32 s33, s29, s34
	s_wait_alu 0xfffe
	s_add_nc_u64 s[36:37], s[2:3], s[36:37]
	s_mul_hi_u32 s27, s29, s34
	s_mul_hi_u32 s38, s29, s35
	s_add_co_u32 s2, s36, s33
	s_wait_alu 0xfffe
	s_add_co_ci_u32 s2, s37, s27
	s_mul_i32 s34, s29, s35
	s_add_co_ci_u32 s35, s38, 0
	s_wait_alu 0xfffe
	s_add_nc_u64 s[34:35], s[2:3], s[34:35]
	s_wait_alu 0xfffe
	v_add_co_u32 v4, s2, s28, s34
	s_delay_alu instid0(VALU_DEP_1) | instskip(SKIP_1) | instid1(VALU_DEP_1)
	s_cmp_lg_u32 s2, 0
	s_add_co_ci_u32 s29, s29, s35
	v_readfirstlane_b32 s28, v4
	s_wait_alu 0xfffe
	s_delay_alu instid0(VALU_DEP_1)
	s_mul_u64 s[30:31], s[30:31], s[28:29]
	s_wait_alu 0xfffe
	s_mul_hi_u32 s35, s28, s31
	s_mul_i32 s34, s28, s31
	s_mul_hi_u32 s2, s28, s30
	s_mul_i32 s33, s29, s30
	s_wait_alu 0xfffe
	s_add_nc_u64 s[34:35], s[2:3], s[34:35]
	s_mul_hi_u32 s27, s29, s30
	s_mul_hi_u32 s28, s29, s31
	s_wait_alu 0xfffe
	s_add_co_u32 s2, s34, s33
	s_add_co_ci_u32 s2, s35, s27
	s_mul_i32 s30, s29, s31
	s_add_co_ci_u32 s31, s28, 0
	s_wait_alu 0xfffe
	s_add_nc_u64 s[30:31], s[2:3], s[30:31]
	s_wait_alu 0xfffe
	v_add_co_u32 v4, s2, v4, s30
	s_delay_alu instid0(VALU_DEP_1) | instskip(SKIP_1) | instid1(VALU_DEP_1)
	s_cmp_lg_u32 s2, 0
	s_add_co_ci_u32 s2, s29, s31
	v_mul_hi_u32 v14, v5, v4
	s_wait_alu 0xfffe
	v_mad_co_u64_u32 v[8:9], null, v5, s2, 0
	v_mad_co_u64_u32 v[10:11], null, v6, v4, 0
	;; [unrolled: 1-line block ×3, first 2 shown]
	s_delay_alu instid0(VALU_DEP_3) | instskip(SKIP_1) | instid1(VALU_DEP_4)
	v_add_co_u32 v4, vcc_lo, v14, v8
	s_wait_alu 0xfffd
	v_add_co_ci_u32_e32 v8, vcc_lo, 0, v9, vcc_lo
	s_delay_alu instid0(VALU_DEP_2) | instskip(SKIP_1) | instid1(VALU_DEP_2)
	v_add_co_u32 v4, vcc_lo, v4, v10
	s_wait_alu 0xfffd
	v_add_co_ci_u32_e32 v4, vcc_lo, v8, v11, vcc_lo
	s_wait_alu 0xfffd
	v_add_co_ci_u32_e32 v8, vcc_lo, 0, v13, vcc_lo
	s_delay_alu instid0(VALU_DEP_2) | instskip(SKIP_1) | instid1(VALU_DEP_2)
	v_add_co_u32 v4, vcc_lo, v4, v12
	s_wait_alu 0xfffd
	v_add_co_ci_u32_e32 v10, vcc_lo, 0, v8, vcc_lo
	s_delay_alu instid0(VALU_DEP_2) | instskip(SKIP_1) | instid1(VALU_DEP_3)
	v_mul_lo_u32 v11, s25, v4
	v_mad_co_u64_u32 v[8:9], null, s24, v4, 0
	v_mul_lo_u32 v12, s24, v10
	s_delay_alu instid0(VALU_DEP_2) | instskip(NEXT) | instid1(VALU_DEP_2)
	v_sub_co_u32 v8, vcc_lo, v5, v8
	v_add3_u32 v9, v9, v12, v11
	s_delay_alu instid0(VALU_DEP_1) | instskip(SKIP_1) | instid1(VALU_DEP_1)
	v_sub_nc_u32_e32 v11, v6, v9
	s_wait_alu 0xfffd
	v_subrev_co_ci_u32_e64 v11, s2, s25, v11, vcc_lo
	v_add_co_u32 v12, s2, v4, 2
	s_wait_alu 0xf1ff
	v_add_co_ci_u32_e64 v13, s2, 0, v10, s2
	v_sub_co_u32 v14, s2, v8, s24
	v_sub_co_ci_u32_e32 v9, vcc_lo, v6, v9, vcc_lo
	s_wait_alu 0xf1ff
	v_subrev_co_ci_u32_e64 v11, s2, 0, v11, s2
	s_delay_alu instid0(VALU_DEP_3) | instskip(NEXT) | instid1(VALU_DEP_3)
	v_cmp_le_u32_e32 vcc_lo, s24, v14
	v_cmp_eq_u32_e64 s2, s25, v9
	s_wait_alu 0xfffd
	v_cndmask_b32_e64 v14, 0, -1, vcc_lo
	v_cmp_le_u32_e32 vcc_lo, s25, v11
	s_wait_alu 0xfffd
	v_cndmask_b32_e64 v15, 0, -1, vcc_lo
	v_cmp_le_u32_e32 vcc_lo, s24, v8
	;; [unrolled: 3-line block ×3, first 2 shown]
	s_wait_alu 0xfffd
	v_cndmask_b32_e64 v18, 0, -1, vcc_lo
	v_cmp_eq_u32_e32 vcc_lo, s25, v11
	s_wait_alu 0xf1ff
	s_delay_alu instid0(VALU_DEP_2)
	v_cndmask_b32_e64 v8, v18, v8, s2
	s_wait_alu 0xfffd
	v_cndmask_b32_e32 v11, v15, v14, vcc_lo
	v_add_co_u32 v14, vcc_lo, v4, 1
	s_wait_alu 0xfffd
	v_add_co_ci_u32_e32 v15, vcc_lo, 0, v10, vcc_lo
	s_delay_alu instid0(VALU_DEP_3) | instskip(SKIP_2) | instid1(VALU_DEP_3)
	v_cmp_ne_u32_e32 vcc_lo, 0, v11
	s_wait_alu 0xfffd
	v_cndmask_b32_e32 v11, v14, v12, vcc_lo
	v_cndmask_b32_e32 v9, v15, v13, vcc_lo
	v_cmp_ne_u32_e32 vcc_lo, 0, v8
	s_wait_alu 0xfffd
	s_delay_alu instid0(VALU_DEP_2)
	v_dual_cndmask_b32 v20, v4, v11 :: v_dual_cndmask_b32 v21, v10, v9
.LBB0_4:                                ;   in Loop: Header=BB0_2 Depth=1
	s_wait_alu 0xfffe
	s_and_not1_saveexec_b32 s2, s26
	s_cbranch_execz .LBB0_6
; %bb.5:                                ;   in Loop: Header=BB0_2 Depth=1
	v_cvt_f32_u32_e32 v4, s24
	s_sub_co_i32 s26, 0, s24
	v_mov_b32_e32 v21, v3
	s_delay_alu instid0(VALU_DEP_2) | instskip(NEXT) | instid1(TRANS32_DEP_1)
	v_rcp_iflag_f32_e32 v4, v4
	v_mul_f32_e32 v4, 0x4f7ffffe, v4
	s_delay_alu instid0(VALU_DEP_1) | instskip(SKIP_1) | instid1(VALU_DEP_1)
	v_cvt_u32_f32_e32 v4, v4
	s_wait_alu 0xfffe
	v_mul_lo_u32 v8, s26, v4
	s_delay_alu instid0(VALU_DEP_1) | instskip(NEXT) | instid1(VALU_DEP_1)
	v_mul_hi_u32 v8, v4, v8
	v_add_nc_u32_e32 v4, v4, v8
	s_delay_alu instid0(VALU_DEP_1) | instskip(NEXT) | instid1(VALU_DEP_1)
	v_mul_hi_u32 v4, v5, v4
	v_mul_lo_u32 v8, v4, s24
	s_delay_alu instid0(VALU_DEP_1) | instskip(NEXT) | instid1(VALU_DEP_1)
	v_sub_nc_u32_e32 v8, v5, v8
	v_subrev_nc_u32_e32 v10, s24, v8
	v_cmp_le_u32_e32 vcc_lo, s24, v8
	s_wait_alu 0xfffd
	s_delay_alu instid0(VALU_DEP_2) | instskip(NEXT) | instid1(VALU_DEP_1)
	v_dual_cndmask_b32 v8, v8, v10 :: v_dual_add_nc_u32 v9, 1, v4
	v_cndmask_b32_e32 v4, v4, v9, vcc_lo
	s_delay_alu instid0(VALU_DEP_2) | instskip(NEXT) | instid1(VALU_DEP_2)
	v_cmp_le_u32_e32 vcc_lo, s24, v8
	v_add_nc_u32_e32 v9, 1, v4
	s_wait_alu 0xfffd
	s_delay_alu instid0(VALU_DEP_1)
	v_cndmask_b32_e32 v20, v4, v9, vcc_lo
.LBB0_6:                                ;   in Loop: Header=BB0_2 Depth=1
	s_wait_alu 0xfffe
	s_or_b32 exec_lo, exec_lo, s2
	v_mul_lo_u32 v4, v21, s24
	s_delay_alu instid0(VALU_DEP_2)
	v_mul_lo_u32 v10, v20, s25
	s_load_b64 s[26:27], s[18:19], 0x0
	v_mad_co_u64_u32 v[8:9], null, v20, s24, 0
	s_load_b64 s[24:25], s[16:17], 0x0
	s_add_nc_u64 s[20:21], s[20:21], 1
	s_add_nc_u64 s[16:17], s[16:17], 8
	s_wait_alu 0xfffe
	v_cmp_ge_u64_e64 s2, s[20:21], s[10:11]
	s_add_nc_u64 s[18:19], s[18:19], 8
	s_add_nc_u64 s[22:23], s[22:23], 8
	v_add3_u32 v4, v9, v10, v4
	v_sub_co_u32 v5, vcc_lo, v5, v8
	s_wait_alu 0xfffd
	s_delay_alu instid0(VALU_DEP_2) | instskip(SKIP_2) | instid1(VALU_DEP_1)
	v_sub_co_ci_u32_e32 v4, vcc_lo, v6, v4, vcc_lo
	s_and_b32 vcc_lo, exec_lo, s2
	s_wait_kmcnt 0x0
	v_mul_lo_u32 v6, s26, v4
	v_mul_lo_u32 v8, s27, v5
	v_mad_co_u64_u32 v[1:2], null, s26, v5, v[1:2]
	v_mul_lo_u32 v4, s24, v4
	v_mul_lo_u32 v9, s25, v5
	v_mad_co_u64_u32 v[16:17], null, s24, v5, v[16:17]
	s_delay_alu instid0(VALU_DEP_4) | instskip(NEXT) | instid1(VALU_DEP_2)
	v_add3_u32 v2, v8, v2, v6
	v_add3_u32 v17, v9, v17, v4
	s_wait_alu 0xfffe
	s_cbranch_vccnz .LBB0_9
; %bb.7:                                ;   in Loop: Header=BB0_2 Depth=1
	v_dual_mov_b32 v5, v20 :: v_dual_mov_b32 v6, v21
	s_branch .LBB0_2
.LBB0_8:
	v_dual_mov_b32 v17, v2 :: v_dual_mov_b32 v16, v1
	v_dual_mov_b32 v21, v6 :: v_dual_mov_b32 v20, v5
.LBB0_9:
	s_load_b64 s[0:1], s[0:1], 0x28
	v_and_b32_e32 v3, 1, v7
	v_mul_hi_u32 v4, 0x8888889, v0
	s_lshl_b64 s[10:11], s[10:11], 3
                                        ; implicit-def: $vgpr18
                                        ; implicit-def: $vgpr22
                                        ; implicit-def: $vgpr25
                                        ; implicit-def: $vgpr24
	s_wait_kmcnt 0x0
	v_cmp_gt_u64_e32 vcc_lo, s[0:1], v[20:21]
	v_cmp_le_u64_e64 s1, s[0:1], v[20:21]
	v_cmp_eq_u32_e64 s0, 1, v3
	s_delay_alu instid0(VALU_DEP_2)
	s_and_saveexec_b32 s2, s1
	s_wait_alu 0xfffe
	s_xor_b32 s1, exec_lo, s2
; %bb.10:
	v_mul_u32_u24_e32 v1, 30, v4
                                        ; implicit-def: $vgpr4
	s_delay_alu instid0(VALU_DEP_1) | instskip(NEXT) | instid1(VALU_DEP_1)
	v_sub_nc_u32_e32 v18, v0, v1
                                        ; implicit-def: $vgpr0
                                        ; implicit-def: $vgpr1_vgpr2
	v_add_nc_u32_e32 v22, 30, v18
	v_add_nc_u32_e32 v25, 60, v18
	;; [unrolled: 1-line block ×3, first 2 shown]
; %bb.11:
	s_wait_alu 0xfffe
	s_or_saveexec_b32 s1, s1
	v_cndmask_b32_e64 v3, 0, 0x12d, s0
	s_add_nc_u64 s[2:3], s[14:15], s[10:11]
	s_delay_alu instid0(VALU_DEP_1)
	v_lshlrev_b32_e32 v3, 3, v3
	s_wait_alu 0xfffe
	s_xor_b32 exec_lo, exec_lo, s1
	s_cbranch_execz .LBB0_13
; %bb.12:
	s_add_nc_u64 s[10:11], s[12:13], s[10:11]
	v_lshlrev_b64_e32 v[1:2], 3, v[1:2]
	s_load_b64 s[10:11], s[10:11], 0x0
	s_wait_kmcnt 0x0
	v_mul_lo_u32 v7, s11, v20
	v_mul_lo_u32 v8, s10, v21
	v_mad_co_u64_u32 v[5:6], null, s10, v20, 0
	s_delay_alu instid0(VALU_DEP_1) | instskip(SKIP_1) | instid1(VALU_DEP_2)
	v_add3_u32 v6, v6, v8, v7
	v_mul_u32_u24_e32 v7, 30, v4
	v_lshlrev_b64_e32 v[4:5], 3, v[5:6]
	s_delay_alu instid0(VALU_DEP_2) | instskip(NEXT) | instid1(VALU_DEP_1)
	v_sub_nc_u32_e32 v18, v0, v7
	v_lshlrev_b32_e32 v19, 3, v18
	s_delay_alu instid0(VALU_DEP_3) | instskip(SKIP_1) | instid1(VALU_DEP_4)
	v_add_co_u32 v0, s0, s4, v4
	s_wait_alu 0xf1ff
	v_add_co_ci_u32_e64 v4, s0, s5, v5, s0
	v_add_nc_u32_e32 v22, 30, v18
	s_delay_alu instid0(VALU_DEP_3) | instskip(SKIP_1) | instid1(VALU_DEP_3)
	v_add_co_u32 v0, s0, v0, v1
	s_wait_alu 0xf1ff
	v_add_co_ci_u32_e64 v1, s0, v4, v2, s0
	v_add3_u32 v2, 0, v3, v19
	s_delay_alu instid0(VALU_DEP_3) | instskip(SKIP_1) | instid1(VALU_DEP_3)
	v_add_co_u32 v0, s0, v0, v19
	s_wait_alu 0xf1ff
	v_add_co_ci_u32_e64 v1, s0, 0, v1, s0
	s_clause 0x9
	global_load_b64 v[4:5], v[0:1], off
	global_load_b64 v[6:7], v[0:1], off offset:240
	global_load_b64 v[8:9], v[0:1], off offset:480
	;; [unrolled: 1-line block ×9, first 2 shown]
	v_add_nc_u32_e32 v25, 60, v18
	v_add_nc_u32_e32 v24, 0x5a, v18
	;; [unrolled: 1-line block ×3, first 2 shown]
	s_wait_loadcnt 0x8
	ds_store_2addr_b64 v2, v[4:5], v[6:7] offset1:30
	s_wait_loadcnt 0x6
	ds_store_2addr_b64 v2, v[8:9], v[10:11] offset0:60 offset1:90
	s_wait_loadcnt 0x4
	ds_store_2addr_b64 v2, v[12:13], v[14:15] offset0:120 offset1:150
	s_wait_loadcnt 0x2
	ds_store_2addr_b64 v2, v[26:27], v[28:29] offset0:180 offset1:210
	s_wait_loadcnt 0x0
	ds_store_2addr_b64 v19, v[30:31], v[0:1] offset0:112 offset1:142
.LBB0_13:
	s_or_b32 exec_lo, exec_lo, s1
	v_lshlrev_b32_e32 v19, 3, v18
	v_add_nc_u32_e32 v36, 0, v3
	s_load_b64 s[2:3], s[2:3], 0x0
	global_wb scope:SCOPE_SE
	s_wait_dscnt 0x0
	s_wait_kmcnt 0x0
	s_barrier_signal -1
	v_add3_u32 v23, 0, v19, v3
	v_add_nc_u32_e32 v37, v36, v19
	s_barrier_wait -1
	global_inv scope:SCOPE_SE
	v_cmp_gt_u32_e64 s0, 10, v18
	ds_load_2addr_b64 v[4:7], v23 offset0:30 offset1:60
	ds_load_2addr_b64 v[8:11], v23 offset0:90 offset1:120
	ds_load_b64 v[0:1], v37
	ds_load_2addr_b64 v[12:15], v23 offset0:150 offset1:180
	ds_load_2addr_b64 v[26:29], v23 offset0:210 offset1:240
	ds_load_b64 v[30:31], v23 offset:2160
	global_wb scope:SCOPE_SE
	s_wait_dscnt 0x0
	s_barrier_signal -1
	s_barrier_wait -1
	global_inv scope:SCOPE_SE
	v_dual_sub_f32 v35, v6, v10 :: v_dual_add_f32 v42, v1, v7
	v_dual_add_f32 v2, v0, v6 :: v_dual_add_f32 v39, v6, v28
	v_add_f32_e32 v32, v10, v14
	v_sub_f32_e32 v34, v11, v15
	v_dual_sub_f32 v38, v28, v14 :: v_dual_sub_f32 v41, v14, v28
	v_dual_sub_f32 v40, v10, v6 :: v_dual_add_f32 v43, v11, v15
	s_delay_alu instid0(VALU_DEP_4)
	v_fma_f32 v32, -0.5, v32, v0
	v_fma_f32 v0, -0.5, v39, v0
	v_dual_sub_f32 v33, v7, v29 :: v_dual_sub_f32 v6, v6, v28
	v_dual_add_f32 v45, v7, v29 :: v_dual_sub_f32 v44, v10, v14
	v_add_f32_e32 v2, v2, v10
	v_dual_add_f32 v10, v35, v38 :: v_dual_add_f32 v35, v40, v41
	v_fmamk_f32 v41, v34, 0x3f737871, v0
	v_add_f32_e32 v38, v42, v11
	v_fma_f32 v39, -0.5, v43, v1
	v_dual_fmac_f32 v1, -0.5, v45 :: v_dual_fmac_f32 v0, 0xbf737871, v34
	s_delay_alu instid0(VALU_DEP_4) | instskip(NEXT) | instid1(VALU_DEP_4)
	v_dual_fmac_f32 v41, 0xbf167918, v33 :: v_dual_add_f32 v2, v2, v14
	v_add_f32_e32 v14, v38, v15
	s_delay_alu instid0(VALU_DEP_4)
	v_fmamk_f32 v38, v6, 0x3f737871, v39
	v_dual_fmac_f32 v39, 0xbf737871, v6 :: v_dual_fmamk_f32 v40, v33, 0xbf737871, v32
	v_fmac_f32_e32 v32, 0x3f737871, v33
	v_fmac_f32_e32 v0, 0x3f167918, v33
	v_dual_fmac_f32 v41, 0x3e9e377a, v35 :: v_dual_add_f32 v2, v2, v28
	v_sub_f32_e32 v28, v29, v15
	s_delay_alu instid0(VALU_DEP_4) | instskip(SKIP_3) | instid1(VALU_DEP_4)
	v_dual_fmac_f32 v32, 0x3f167918, v34 :: v_dual_add_f32 v33, v14, v29
	v_dual_fmac_f32 v40, 0xbf167918, v34 :: v_dual_fmac_f32 v39, 0xbf167918, v44
	v_fmamk_f32 v34, v44, 0xbf737871, v1
	v_fmac_f32_e32 v1, 0x3f737871, v44
	v_fmac_f32_e32 v32, 0x3e9e377a, v10
	s_delay_alu instid0(VALU_DEP_3) | instskip(NEXT) | instid1(VALU_DEP_3)
	v_fmac_f32_e32 v34, 0x3f167918, v6
	v_fmac_f32_e32 v1, 0xbf167918, v6
	;; [unrolled: 1-line block ×3, first 2 shown]
	v_sub_f32_e32 v10, v7, v11
	v_sub_f32_e32 v7, v11, v7
	;; [unrolled: 1-line block ×3, first 2 shown]
	v_dual_sub_f32 v15, v9, v31 :: v_dual_add_f32 v14, v12, v26
	v_dual_sub_f32 v29, v30, v26 :: v_dual_fmac_f32 v0, 0x3e9e377a, v35
	s_delay_alu instid0(VALU_DEP_3) | instskip(SKIP_1) | instid1(VALU_DEP_4)
	v_add_f32_e32 v7, v7, v11
	v_add_f32_e32 v11, v4, v8
	v_fma_f32 v14, -0.5, v14, v4
	v_dual_add_f32 v35, v8, v30 :: v_dual_add_f32 v10, v10, v28
	s_delay_alu instid0(VALU_DEP_4) | instskip(NEXT) | instid1(VALU_DEP_4)
	v_fmac_f32_e32 v34, 0x3e9e377a, v7
	v_add_f32_e32 v6, v11, v12
	s_delay_alu instid0(VALU_DEP_4) | instskip(SKIP_2) | instid1(VALU_DEP_4)
	v_dual_fmamk_f32 v11, v15, 0xbf737871, v14 :: v_dual_sub_f32 v28, v8, v12
	v_fmac_f32_e32 v1, 0x3e9e377a, v7
	v_fma_f32 v7, -0.5, v35, v4
	v_add_f32_e32 v6, v6, v26
	v_fmac_f32_e32 v38, 0x3f167918, v44
	v_dual_add_f32 v4, v13, v27 :: v_dual_fmac_f32 v39, 0x3e9e377a, v10
	s_delay_alu instid0(VALU_DEP_3) | instskip(NEXT) | instid1(VALU_DEP_3)
	v_dual_add_f32 v28, v28, v29 :: v_dual_add_f32 v29, v6, v30
	v_fmac_f32_e32 v38, 0x3e9e377a, v10
	v_fmac_f32_e32 v14, 0x3f737871, v15
	s_delay_alu instid0(VALU_DEP_4) | instskip(SKIP_3) | instid1(VALU_DEP_2)
	v_fma_f32 v42, -0.5, v4, v5
	v_sub_f32_e32 v4, v8, v30
	v_sub_f32_e32 v10, v13, v27
	v_dual_sub_f32 v6, v12, v8 :: v_dual_sub_f32 v35, v26, v30
	v_fmac_f32_e32 v11, 0xbf167918, v10
	v_fmac_f32_e32 v14, 0x3f167918, v10
	s_delay_alu instid0(VALU_DEP_2) | instskip(NEXT) | instid1(VALU_DEP_2)
	v_dual_add_f32 v6, v6, v35 :: v_dual_fmac_f32 v11, 0x3e9e377a, v28
	v_fmac_f32_e32 v14, 0x3e9e377a, v28
	v_fmamk_f32 v28, v10, 0x3f737871, v7
	v_fmac_f32_e32 v7, 0xbf737871, v10
	s_delay_alu instid0(VALU_DEP_4) | instskip(NEXT) | instid1(VALU_DEP_2)
	v_mul_f32_e32 v45, 0x3f167918, v11
	v_fmac_f32_e32 v7, 0x3f167918, v15
	s_delay_alu instid0(VALU_DEP_1) | instskip(SKIP_4) | instid1(VALU_DEP_4)
	v_fmac_f32_e32 v7, 0x3e9e377a, v6
	v_fmac_f32_e32 v28, 0xbf167918, v15
	v_sub_f32_e32 v10, v12, v26
	v_dual_sub_f32 v12, v27, v31 :: v_dual_fmamk_f32 v15, v4, 0x3f737871, v42
	v_fmac_f32_e32 v42, 0xbf737871, v4
	v_fmac_f32_e32 v28, 0x3e9e377a, v6
	v_add_f32_e32 v8, v9, v31
	v_sub_f32_e32 v6, v9, v13
	s_delay_alu instid0(VALU_DEP_2) | instskip(SKIP_1) | instid1(VALU_DEP_2)
	v_fma_f32 v26, -0.5, v8, v5
	v_dual_add_f32 v5, v5, v9 :: v_dual_sub_f32 v8, v31, v27
	v_dual_sub_f32 v9, v13, v9 :: v_dual_fmamk_f32 v30, v10, 0xbf737871, v26
	v_fmac_f32_e32 v26, 0x3f737871, v10
	s_delay_alu instid0(VALU_DEP_3) | instskip(NEXT) | instid1(VALU_DEP_3)
	v_add_f32_e32 v6, v6, v8
	v_dual_add_f32 v8, v9, v12 :: v_dual_and_b32 v9, 0xff, v18
	s_delay_alu instid0(VALU_DEP_3) | instskip(NEXT) | instid1(VALU_DEP_1)
	v_fmac_f32_e32 v26, 0xbf167918, v4
	v_fmac_f32_e32 v26, 0x3e9e377a, v8
	s_delay_alu instid0(VALU_DEP_1) | instskip(SKIP_1) | instid1(VALU_DEP_2)
	v_mul_f32_e32 v43, 0xbf737871, v26
	v_mul_f32_e32 v47, 0xbe9e377a, v26
	v_fmac_f32_e32 v43, 0xbe9e377a, v7
	v_fmac_f32_e32 v15, 0x3f167918, v10
	s_delay_alu instid0(VALU_DEP_3) | instskip(NEXT) | instid1(VALU_DEP_2)
	v_fmac_f32_e32 v47, 0x3f737871, v7
	v_fmac_f32_e32 v15, 0x3e9e377a, v6
	s_delay_alu instid0(VALU_DEP_1) | instskip(SKIP_3) | instid1(VALU_DEP_2)
	v_fmac_f32_e32 v45, 0x3f4f1bbd, v15
	v_fmac_f32_e32 v30, 0x3f167918, v4
	v_add_f32_e32 v4, v5, v13
	v_mul_lo_u16 v13, 0xcd, v9
	v_dual_add_f32 v7, v38, v45 :: v_dual_add_f32 v4, v4, v27
	v_mul_f32_e32 v27, 0xbf167918, v15
	s_delay_alu instid0(VALU_DEP_3) | instskip(NEXT) | instid1(VALU_DEP_3)
	v_lshrrev_b16 v48, 11, v13
	v_add_f32_e32 v31, v4, v31
	s_delay_alu instid0(VALU_DEP_3) | instskip(SKIP_2) | instid1(VALU_DEP_4)
	v_dual_fmac_f32 v27, 0x3f4f1bbd, v11 :: v_dual_add_f32 v4, v2, v29
	v_add_f32_e32 v11, v1, v47
	v_sub_f32_e32 v1, v1, v47
	v_dual_sub_f32 v15, v33, v31 :: v_dual_fmac_f32 v42, 0xbf167918, v10
	s_delay_alu instid0(VALU_DEP_4)
	v_sub_f32_e32 v26, v40, v27
	v_add_f32_e32 v5, v33, v31
	v_add_f32_e32 v10, v0, v43
	v_sub_f32_e32 v0, v0, v43
	v_fmac_f32_e32 v42, 0x3e9e377a, v6
	v_dual_add_f32 v6, v40, v27 :: v_dual_sub_f32 v27, v38, v45
	v_fmac_f32_e32 v30, 0x3e9e377a, v8
	v_lshl_add_u32 v40, v22, 3, v36
	s_delay_alu instid0(VALU_DEP_4)
	v_mul_f32_e32 v44, 0xbf167918, v42
	v_mul_f32_e32 v42, 0xbf4f1bbd, v42
	v_lshl_add_u32 v38, v24, 3, v36
	v_mul_f32_e32 v35, 0xbf737871, v30
	v_mul_f32_e32 v46, 0x3e9e377a, v30
	v_fmac_f32_e32 v44, 0xbf4f1bbd, v14
	v_fmac_f32_e32 v42, 0x3f167918, v14
	v_sub_f32_e32 v14, v2, v29
	v_mul_lo_u16 v2, v48, 10
	v_fmac_f32_e32 v35, 0x3e9e377a, v28
	v_fmac_f32_e32 v46, 0x3f737871, v28
	v_add_f32_e32 v12, v32, v44
	v_sub_f32_e32 v30, v32, v44
	v_sub_nc_u16 v2, v18, v2
	v_add_f32_e32 v8, v41, v35
	v_dual_sub_f32 v28, v41, v35 :: v_dual_add_f32 v9, v34, v46
	v_add_f32_e32 v13, v39, v42
	s_delay_alu instid0(VALU_DEP_4)
	v_and_b32_e32 v41, 0xff, v2
	v_mad_u32_u24 v2, 0x48, v18, v23
	v_sub_f32_e32 v29, v34, v46
	v_sub_f32_e32 v31, v39, v42
	ds_store_2addr_b64 v2, v[4:5], v[6:7] offset1:1
	ds_store_2addr_b64 v2, v[8:9], v[10:11] offset0:2 offset1:3
	ds_store_2addr_b64 v2, v[12:13], v[14:15] offset0:4 offset1:5
	;; [unrolled: 1-line block ×4, first 2 shown]
	v_mul_u32_u24_e32 v32, 9, v41
	global_wb scope:SCOPE_SE
	s_wait_dscnt 0x0
	s_barrier_signal -1
	s_barrier_wait -1
	global_inv scope:SCOPE_SE
	v_lshlrev_b32_e32 v0, 3, v32
	s_clause 0x4
	global_load_b128 v[4:7], v0, s[8:9]
	global_load_b128 v[8:11], v0, s[8:9] offset:16
	global_load_b128 v[12:15], v0, s[8:9] offset:32
	;; [unrolled: 1-line block ×3, first 2 shown]
	global_load_b64 v[1:2], v0, s[8:9] offset:64
	v_lshl_add_u32 v39, v25, 3, v36
	ds_load_b64 v[34:35], v40
	ds_load_b64 v[49:50], v39
	;; [unrolled: 1-line block ×3, first 2 shown]
	ds_load_2addr_b64 v[30:33], v23 offset0:120 offset1:150
	v_and_b32_e32 v42, 0xffff, v48
	v_lshlrev_b32_e32 v56, 3, v41
	s_delay_alu instid0(VALU_DEP_2) | instskip(NEXT) | instid1(VALU_DEP_1)
	v_mad_u32_u24 v55, 0x320, v42, 0
	v_add3_u32 v55, v55, v56, v3
	s_wait_loadcnt_dscnt 0x300
	v_dual_mul_f32 v3, v5, v34 :: v_dual_mul_f32 v58, v11, v31
	v_mul_f32_e32 v11, v11, v30
	s_wait_loadcnt 0x2
	v_mul_f32_e32 v59, v13, v33
	v_mul_f32_e32 v57, v9, v52
	v_dual_mul_f32 v9, v9, v51 :: v_dual_fmac_f32 v58, v10, v30
	v_dual_mul_f32 v56, v5, v35 :: v_dual_mul_f32 v5, v7, v50
	v_mul_f32_e32 v7, v7, v49
	v_fmac_f32_e32 v59, v12, v32
	s_delay_alu instid0(VALU_DEP_3)
	v_dual_mul_f32 v13, v13, v32 :: v_dual_fmac_f32 v56, v4, v34
	v_fma_f32 v34, v4, v35, -v3
	v_fmac_f32_e32 v5, v6, v49
	v_fma_f32 v3, v6, v50, -v7
	v_fma_f32 v6, v10, v31, -v11
	v_add_nc_u32_e32 v0, 0x400, v23
	ds_load_2addr_b64 v[41:44], v23 offset0:180 offset1:210
	ds_load_b64 v[53:54], v37
	ds_load_2addr_b64 v[45:48], v0 offset0:112 offset1:142
	v_fmac_f32_e32 v57, v8, v51
	v_fma_f32 v4, v8, v52, -v9
	v_fma_f32 v7, v12, v33, -v13
	global_wb scope:SCOPE_SE
	s_wait_loadcnt_dscnt 0x0
	s_barrier_signal -1
	v_sub_f32_e32 v49, v59, v57
	v_add_f32_e32 v51, v34, v4
	v_sub_f32_e32 v65, v4, v7
	s_barrier_wait -1
	global_inv scope:SCOPE_SE
	v_mul_f32_e32 v61, v44, v27
	v_dual_mul_f32 v27, v43, v27 :: v_dual_mul_f32 v62, v46, v29
	v_mul_f32_e32 v29, v45, v29
	v_mul_f32_e32 v63, v48, v2
	;; [unrolled: 1-line block ×3, first 2 shown]
	v_fmac_f32_e32 v61, v43, v26
	v_fma_f32 v9, v44, v26, -v27
	v_fma_f32 v10, v46, v28, -v29
	v_mul_f32_e32 v60, v42, v15
	v_mul_f32_e32 v15, v41, v15
	v_fmac_f32_e32 v63, v47, v1
	v_add_f32_e32 v29, v54, v3
	v_add_f32_e32 v35, v3, v10
	v_fmac_f32_e32 v60, v41, v14
	v_fma_f32 v8, v42, v14, -v15
	v_sub_f32_e32 v47, v63, v61
	v_sub_f32_e32 v12, v3, v10
	v_dual_sub_f32 v32, v3, v6 :: v_dual_sub_f32 v3, v6, v3
	s_delay_alu instid0(VALU_DEP_4) | instskip(SKIP_2) | instid1(VALU_DEP_3)
	v_dual_sub_f32 v41, v8, v10 :: v_dual_fmac_f32 v62, v45, v28
	v_fma_f32 v1, v48, v1, -v2
	v_add_f32_e32 v2, v53, v5
	v_dual_add_f32 v30, v6, v8 :: v_dual_add_f32 v3, v3, v41
	s_delay_alu instid0(VALU_DEP_4)
	v_sub_f32_e32 v15, v62, v60
	v_sub_f32_e32 v45, v7, v9
	v_dual_add_f32 v11, v58, v60 :: v_dual_sub_f32 v14, v5, v58
	v_dual_sub_f32 v27, v58, v5 :: v_dual_sub_f32 v28, v60, v62
	v_dual_add_f32 v26, v5, v62 :: v_dual_add_f32 v67, v4, v1
	v_sub_f32_e32 v5, v5, v62
	v_sub_f32_e32 v31, v58, v60
	v_add_f32_e32 v43, v59, v61
	v_add_f32_e32 v42, v56, v57
	;; [unrolled: 1-line block ×3, first 2 shown]
	v_fma_f32 v58, -0.5, v11, v53
	v_add_f32_e32 v11, v14, v15
	v_add_f32_e32 v15, v27, v28
	v_fma_f32 v27, -0.5, v30, v54
	v_sub_f32_e32 v13, v6, v8
	v_dual_sub_f32 v33, v10, v8 :: v_dual_sub_f32 v64, v59, v61
	v_add_f32_e32 v6, v29, v6
	v_fma_f32 v29, -0.5, v43, v56
	v_dual_fmamk_f32 v43, v5, 0x3f737871, v27 :: v_dual_sub_f32 v44, v4, v1
	v_dual_sub_f32 v46, v57, v59 :: v_dual_fmac_f32 v27, 0xbf737871, v5
	v_sub_f32_e32 v4, v7, v4
	s_delay_alu instid0(VALU_DEP_3)
	v_dual_sub_f32 v68, v9, v1 :: v_dual_fmac_f32 v43, 0x3f167918, v31
	v_fma_f32 v14, -0.5, v26, v53
	v_add_f32_e32 v2, v2, v60
	v_sub_f32_e32 v66, v1, v9
	v_add_f32_e32 v52, v7, v9
	v_add_f32_e32 v7, v51, v7
	;; [unrolled: 1-line block ×3, first 2 shown]
	v_sub_f32_e32 v50, v61, v63
	v_sub_f32_e32 v57, v57, v63
	v_fmamk_f32 v41, v12, 0xbf737871, v58
	v_add_f32_e32 v7, v7, v9
	v_dual_add_f32 v26, v32, v33 :: v_dual_fmac_f32 v27, 0xbf167918, v31
	s_delay_alu instid0(VALU_DEP_3) | instskip(NEXT) | instid1(VALU_DEP_3)
	v_dual_fmac_f32 v54, -0.5, v35 :: v_dual_fmac_f32 v41, 0xbf167918, v13
	v_dual_add_f32 v32, v49, v50 :: v_dual_add_f32 v7, v7, v1
	s_delay_alu instid0(VALU_DEP_3)
	v_fmac_f32_e32 v43, 0x3e9e377a, v26
	v_add_f32_e32 v49, v2, v62
	v_add_f32_e32 v35, v65, v66
	v_fma_f32 v33, -0.5, v52, v34
	v_add_f32_e32 v28, v42, v59
	v_add_f32_e32 v30, v46, v47
	v_fmamk_f32 v46, v31, 0xbf737871, v54
	s_delay_alu instid0(VALU_DEP_4) | instskip(SKIP_4) | instid1(VALU_DEP_4)
	v_dual_fmac_f32 v54, 0x3f737871, v31 :: v_dual_fmamk_f32 v9, v57, 0x3f737871, v33
	v_dual_fmac_f32 v33, 0xbf737871, v57 :: v_dual_add_f32 v6, v6, v8
	v_dual_fmac_f32 v27, 0x3e9e377a, v26 :: v_dual_add_f32 v8, v28, v61
	v_fmamk_f32 v28, v44, 0xbf737871, v29
	v_fmac_f32_e32 v29, 0x3f737871, v44
	v_dual_fmac_f32 v54, 0xbf167918, v5 :: v_dual_fmac_f32 v33, 0xbf167918, v64
	v_dual_fmac_f32 v56, -0.5, v48 :: v_dual_fmac_f32 v41, 0x3e9e377a, v11
	s_delay_alu instid0(VALU_DEP_3) | instskip(NEXT) | instid1(VALU_DEP_3)
	v_fmac_f32_e32 v29, 0x3f167918, v45
	v_fmac_f32_e32 v54, 0x3e9e377a, v3
	v_dual_fmac_f32 v46, 0x3f167918, v5 :: v_dual_add_f32 v5, v8, v63
	v_fmac_f32_e32 v58, 0x3f737871, v12
	v_dual_fmamk_f32 v47, v45, 0x3f737871, v56 :: v_dual_add_f32 v4, v4, v68
	s_delay_alu instid0(VALU_DEP_3)
	v_fmac_f32_e32 v46, 0x3e9e377a, v3
	v_fmac_f32_e32 v33, 0x3e9e377a, v35
	v_add_f32_e32 v1, v49, v5
	v_fmac_f32_e32 v58, 0x3f167918, v13
	v_dual_fmac_f32 v47, 0xbf167918, v44 :: v_dual_add_f32 v6, v6, v10
	v_dual_fmac_f32 v34, -0.5, v67 :: v_dual_fmac_f32 v9, 0x3f167918, v64
	s_delay_alu instid0(VALU_DEP_3) | instskip(NEXT) | instid1(VALU_DEP_3)
	v_dual_fmac_f32 v58, 0x3e9e377a, v11 :: v_dual_fmac_f32 v29, 0x3e9e377a, v30
	v_dual_fmac_f32 v47, 0x3e9e377a, v32 :: v_dual_add_f32 v2, v6, v7
	v_mul_f32_e32 v31, 0xbf167918, v33
	v_sub_f32_e32 v3, v49, v5
	s_delay_alu instid0(VALU_DEP_2) | instskip(SKIP_1) | instid1(VALU_DEP_2)
	v_fmac_f32_e32 v31, 0xbf4f1bbd, v29
	v_fmamk_f32 v48, v64, 0xbf737871, v34
	v_dual_fmac_f32 v34, 0x3f737871, v64 :: v_dual_add_f32 v11, v58, v31
	s_delay_alu instid0(VALU_DEP_2) | instskip(SKIP_1) | instid1(VALU_DEP_3)
	v_fmac_f32_e32 v48, 0x3f167918, v57
	v_fmac_f32_e32 v9, 0x3e9e377a, v35
	;; [unrolled: 1-line block ×3, first 2 shown]
	s_delay_alu instid0(VALU_DEP_3) | instskip(NEXT) | instid1(VALU_DEP_2)
	v_fmac_f32_e32 v48, 0x3e9e377a, v4
	v_fmac_f32_e32 v34, 0x3e9e377a, v4
	v_dual_sub_f32 v4, v6, v7 :: v_dual_mul_f32 v33, 0xbf4f1bbd, v33
	s_delay_alu instid0(VALU_DEP_3)
	v_mul_f32_e32 v35, 0x3e9e377a, v48
	v_fmamk_f32 v42, v13, 0x3f737871, v14
	v_fmac_f32_e32 v14, 0xbf737871, v13
	v_mul_f32_e32 v13, 0xbf167918, v9
	v_fmac_f32_e32 v33, 0x3f167918, v29
	v_fmac_f32_e32 v35, 0x3f737871, v47
	v_fmac_f32_e32 v42, 0xbf167918, v12
	v_fmac_f32_e32 v14, 0x3f167918, v12
	v_mul_f32_e32 v26, 0xbf737871, v34
	v_add_f32_e32 v12, v27, v33
	s_delay_alu instid0(VALU_DEP_4) | instskip(NEXT) | instid1(VALU_DEP_4)
	v_dual_sub_f32 v27, v27, v33 :: v_dual_fmac_f32 v42, 0x3e9e377a, v15
	v_fmac_f32_e32 v14, 0x3e9e377a, v15
	v_dual_fmac_f32 v56, 0xbf737871, v45 :: v_dual_mul_f32 v15, 0xbf737871, v48
	v_mul_f32_e32 v34, 0xbe9e377a, v34
	v_add_f32_e32 v8, v46, v35
	s_delay_alu instid0(VALU_DEP_3) | instskip(NEXT) | instid1(VALU_DEP_1)
	v_dual_sub_f32 v29, v46, v35 :: v_dual_fmac_f32 v56, 0x3f167918, v44
	v_dual_fmac_f32 v15, 0x3e9e377a, v47 :: v_dual_fmac_f32 v56, 0x3e9e377a, v32
	s_delay_alu instid0(VALU_DEP_1) | instskip(NEXT) | instid1(VALU_DEP_2)
	v_dual_add_f32 v7, v42, v15 :: v_dual_fmac_f32 v28, 0xbf167918, v45
	v_fmac_f32_e32 v26, 0xbe9e377a, v56
	v_fmac_f32_e32 v34, 0x3f737871, v56
	s_delay_alu instid0(VALU_DEP_3) | instskip(NEXT) | instid1(VALU_DEP_3)
	v_fmac_f32_e32 v28, 0x3e9e377a, v30
	v_dual_mul_f32 v32, 0x3f4f1bbd, v9 :: v_dual_add_f32 v9, v14, v26
	s_delay_alu instid0(VALU_DEP_2) | instskip(NEXT) | instid1(VALU_DEP_2)
	v_dual_add_f32 v10, v54, v34 :: v_dual_fmac_f32 v13, 0x3f4f1bbd, v28
	v_fmac_f32_e32 v32, 0x3f167918, v28
	v_sub_f32_e32 v28, v42, v15
	s_delay_alu instid0(VALU_DEP_3) | instskip(NEXT) | instid1(VALU_DEP_3)
	v_dual_sub_f32 v30, v14, v26 :: v_dual_add_f32 v5, v41, v13
	v_dual_add_f32 v6, v43, v32 :: v_dual_sub_f32 v13, v41, v13
	v_sub_f32_e32 v14, v43, v32
	v_sub_f32_e32 v26, v58, v31
	;; [unrolled: 1-line block ×3, first 2 shown]
	ds_store_2addr_b64 v55, v[1:2], v[5:6] offset1:10
	ds_store_2addr_b64 v55, v[7:8], v[9:10] offset0:20 offset1:30
	ds_store_2addr_b64 v55, v[11:12], v[3:4] offset0:40 offset1:50
	;; [unrolled: 1-line block ×4, first 2 shown]
	global_wb scope:SCOPE_SE
	s_wait_dscnt 0x0
	s_barrier_signal -1
	s_barrier_wait -1
	global_inv scope:SCOPE_SE
	ds_load_2addr_b64 v[12:15], v23 offset0:100 offset1:130
	ds_load_2addr_b64 v[4:7], v23 offset0:160 offset1:200
	;; [unrolled: 1-line block ×3, first 2 shown]
	ds_load_b64 v[32:33], v37
	ds_load_b64 v[30:31], v40
	;; [unrolled: 1-line block ×3, first 2 shown]
                                        ; implicit-def: $vgpr3
	s_and_saveexec_b32 s1, s0
	s_cbranch_execz .LBB0_15
; %bb.14:
	ds_load_b64 v[26:27], v38
	ds_load_2addr_b64 v[0:3], v0 offset0:62 offset1:162
.LBB0_15:
	s_wait_alu 0xfffe
	s_or_b32 exec_lo, exec_lo, s1
	v_dual_mov_b32 v35, 0 :: v_dual_lshlrev_b32 v34, 1, v18
	s_delay_alu instid0(VALU_DEP_1) | instskip(NEXT) | instid1(VALU_DEP_1)
	v_lshlrev_b64_e32 v[41:42], 3, v[34:35]
	v_add_co_u32 v41, s1, s8, v41
	s_wait_alu 0xf1ff
	s_delay_alu instid0(VALU_DEP_2) | instskip(SKIP_2) | instid1(VALU_DEP_1)
	v_add_co_ci_u32_e64 v42, s1, s9, v42, s1
	global_load_b128 v[41:44], v[41:42], off offset:720
	v_lshlrev_b32_e32 v34, 1, v22
	v_lshlrev_b64_e32 v[45:46], 3, v[34:35]
	s_delay_alu instid0(VALU_DEP_1) | instskip(SKIP_1) | instid1(VALU_DEP_2)
	v_add_co_u32 v45, s1, s8, v45
	s_wait_alu 0xf1ff
	v_add_co_ci_u32_e64 v46, s1, s9, v46, s1
	global_load_b128 v[45:48], v[45:46], off offset:720
	s_wait_loadcnt_dscnt 0x104
	v_dual_mul_f32 v53, v44, v7 :: v_dual_lshlrev_b32 v34, 1, v25
	v_mul_f32_e32 v44, v44, v6
	s_delay_alu instid0(VALU_DEP_2) | instskip(NEXT) | instid1(VALU_DEP_3)
	v_fmac_f32_e32 v53, v43, v6
	v_lshlrev_b64_e32 v[49:50], 3, v[34:35]
	v_mul_f32_e32 v34, v42, v13
	v_mul_f32_e32 v42, v42, v12
	v_fma_f32 v7, v43, v7, -v44
	s_delay_alu instid0(VALU_DEP_4)
	v_add_co_u32 v49, s1, s8, v49
	s_wait_alu 0xf1ff
	v_add_co_ci_u32_e64 v50, s1, s9, v50, s1
	v_fmac_f32_e32 v34, v41, v12
	v_fma_f32 v12, v41, v13, -v42
	s_wait_loadcnt 0x0
	v_mul_f32_e32 v13, v46, v14
	global_load_b128 v[49:52], v[49:50], off offset:720
	s_wait_dscnt 0x2
	v_dual_mul_f32 v6, v46, v15 :: v_dual_add_f32 v43, v32, v34
	v_mul_f32_e32 v41, v48, v9
	v_fma_f32 v13, v45, v15, -v13
	global_wb scope:SCOPE_SE
	s_wait_loadcnt_dscnt 0x0
	v_fmac_f32_e32 v6, v45, v14
	s_barrier_signal -1
	v_fmac_f32_e32 v41, v47, v8
	s_barrier_wait -1
	global_inv scope:SCOPE_SE
	v_sub_f32_e32 v45, v12, v7
	v_mul_f32_e32 v15, v52, v11
	v_mul_f32_e32 v42, v48, v8
	;; [unrolled: 1-line block ×3, first 2 shown]
	s_delay_alu instid0(VALU_DEP_3) | instskip(NEXT) | instid1(VALU_DEP_3)
	v_dual_add_f32 v46, v33, v12 :: v_dual_fmac_f32 v15, v51, v10
	v_fma_f32 v9, v47, v9, -v42
	v_mul_f32_e32 v8, v50, v4
	v_add_f32_e32 v12, v12, v7
	s_delay_alu instid0(VALU_DEP_1) | instskip(SKIP_1) | instid1(VALU_DEP_2)
	v_dual_mul_f32 v42, v52, v10 :: v_dual_fmac_f32 v33, -0.5, v12
	v_add_f32_e32 v44, v34, v53
	v_fma_f32 v42, v51, v11, -v42
	v_sub_f32_e32 v11, v13, v9
	v_fma_f32 v47, v49, v5, -v8
	v_sub_f32_e32 v34, v34, v53
	v_fmac_f32_e32 v14, v49, v4
	v_add_f32_e32 v4, v43, v53
	v_sub_f32_e32 v43, v6, v41
	v_add_f32_e32 v12, v31, v13
	v_dual_add_f32 v13, v13, v9 :: v_dual_add_f32 v8, v30, v6
	v_add_f32_e32 v5, v46, v7
	s_delay_alu instid0(VALU_DEP_2) | instskip(SKIP_1) | instid1(VALU_DEP_1)
	v_fmac_f32_e32 v31, -0.5, v13
	v_add_f32_e32 v10, v6, v41
	v_fma_f32 v30, -0.5, v10, v30
	s_delay_alu instid0(VALU_DEP_1) | instskip(NEXT) | instid1(VALU_DEP_4)
	v_fmamk_f32 v10, v11, 0xbf5db3d7, v30
	v_dual_fmac_f32 v30, 0x3f5db3d7, v11 :: v_dual_fmamk_f32 v11, v43, 0x3f5db3d7, v31
	v_fmac_f32_e32 v31, 0xbf5db3d7, v43
	v_add_f32_e32 v9, v12, v9
	v_dual_add_f32 v8, v8, v41 :: v_dual_add_f32 v41, v29, v47
	v_fmamk_f32 v7, v34, 0x3f5db3d7, v33
	v_fmac_f32_e32 v33, 0xbf5db3d7, v34
	v_fma_f32 v32, -0.5, v44, v32
	v_dual_add_f32 v13, v14, v15 :: v_dual_add_f32 v44, v47, v42
	v_add_f32_e32 v12, v28, v14
	v_sub_f32_e32 v34, v47, v42
	s_delay_alu instid0(VALU_DEP_4) | instskip(NEXT) | instid1(VALU_DEP_4)
	v_fmamk_f32 v6, v45, 0xbf5db3d7, v32
	v_dual_sub_f32 v14, v14, v15 :: v_dual_fmac_f32 v29, -0.5, v44
	v_fma_f32 v28, -0.5, v13, v28
	v_dual_fmac_f32 v32, 0x3f5db3d7, v45 :: v_dual_add_f32 v13, v41, v42
	v_add_f32_e32 v12, v12, v15
	ds_store_2addr_b64 v23, v[4:5], v[6:7] offset1:100
	v_fmamk_f32 v4, v34, 0xbf5db3d7, v28
	v_dual_fmamk_f32 v5, v14, 0x3f5db3d7, v29 :: v_dual_fmac_f32 v28, 0x3f5db3d7, v34
	v_fmac_f32_e32 v29, 0xbf5db3d7, v14
	ds_store_b64 v23, v[32:33] offset:1600
	ds_store_2addr_b64 v40, v[8:9], v[10:11] offset1:100
	ds_store_b64 v40, v[30:31] offset:1600
	ds_store_2addr_b64 v39, v[12:13], v[4:5] offset1:100
	ds_store_b64 v39, v[28:29] offset:1600
	s_and_saveexec_b32 s1, s0
	s_cbranch_execz .LBB0_17
; %bb.16:
	v_add_nc_u32_e32 v4, -10, v18
	s_delay_alu instid0(VALU_DEP_1) | instskip(NEXT) | instid1(VALU_DEP_1)
	v_cndmask_b32_e64 v4, v4, v24, s0
	v_lshlrev_b32_e32 v34, 1, v4
	s_delay_alu instid0(VALU_DEP_1) | instskip(NEXT) | instid1(VALU_DEP_1)
	v_lshlrev_b64_e32 v[4:5], 3, v[34:35]
	v_add_co_u32 v4, s0, s8, v4
	s_wait_alu 0xf1ff
	s_delay_alu instid0(VALU_DEP_2)
	v_add_co_ci_u32_e64 v5, s0, s9, v5, s0
	global_load_b128 v[4:7], v[4:5], off offset:720
	s_wait_loadcnt 0x0
	v_dual_mul_f32 v8, v0, v5 :: v_dual_mul_f32 v9, v2, v7
	v_mul_f32_e32 v7, v3, v7
	v_mul_f32_e32 v5, v1, v5
	s_delay_alu instid0(VALU_DEP_3) | instskip(NEXT) | instid1(VALU_DEP_4)
	v_fma_f32 v8, v1, v4, -v8
	v_fma_f32 v3, v3, v6, -v9
	s_delay_alu instid0(VALU_DEP_4) | instskip(NEXT) | instid1(VALU_DEP_4)
	v_fmac_f32_e32 v7, v2, v6
	v_fmac_f32_e32 v5, v0, v4
	s_delay_alu instid0(VALU_DEP_4) | instskip(NEXT) | instid1(VALU_DEP_4)
	v_add_f32_e32 v6, v27, v8
	v_add_f32_e32 v0, v8, v3
	s_delay_alu instid0(VALU_DEP_3) | instskip(NEXT) | instid1(VALU_DEP_2)
	v_sub_f32_e32 v4, v5, v7
	v_fma_f32 v1, -0.5, v0, v27
	v_dual_add_f32 v2, v5, v7 :: v_dual_add_f32 v5, v26, v5
	v_sub_f32_e32 v8, v8, v3
	s_delay_alu instid0(VALU_DEP_2) | instskip(SKIP_1) | instid1(VALU_DEP_4)
	v_fma_f32 v0, -0.5, v2, v26
	v_add_f32_e32 v3, v6, v3
	v_dual_add_f32 v2, v5, v7 :: v_dual_fmamk_f32 v5, v4, 0xbf5db3d7, v1
	s_delay_alu instid0(VALU_DEP_3)
	v_dual_fmac_f32 v1, 0x3f5db3d7, v4 :: v_dual_fmamk_f32 v4, v8, 0x3f5db3d7, v0
	v_fmac_f32_e32 v0, 0xbf5db3d7, v8
	ds_store_2addr_b64 v23, v[2:3], v[0:1] offset0:90 offset1:190
	ds_store_b64 v23, v[4:5] offset:2320
.LBB0_17:
	s_wait_alu 0xfffe
	s_or_b32 exec_lo, exec_lo, s1
	global_wb scope:SCOPE_SE
	s_wait_dscnt 0x0
	s_barrier_signal -1
	s_barrier_wait -1
	global_inv scope:SCOPE_SE
	ds_load_b64 v[4:5], v37
	v_sub_nc_u32_e32 v6, v36, v19
	s_mov_b32 s1, exec_lo
                                        ; implicit-def: $vgpr0
                                        ; implicit-def: $vgpr7
                                        ; implicit-def: $vgpr8
                                        ; implicit-def: $vgpr2_vgpr3
	v_cmpx_ne_u32_e32 0, v18
	s_wait_alu 0xfffe
	s_xor_b32 s1, exec_lo, s1
	s_cbranch_execz .LBB0_19
; %bb.18:
	ds_load_b64 v[2:3], v6 offset:2400
	s_wait_dscnt 0x0
	v_dual_mov_b32 v19, 0 :: v_dual_add_f32 v8, v3, v5
	s_delay_alu instid0(VALU_DEP_1) | instskip(SKIP_2) | instid1(VALU_DEP_2)
	v_lshlrev_b64_e32 v[0:1], 3, v[18:19]
	v_dual_sub_f32 v7, v4, v2 :: v_dual_add_f32 v2, v2, v4
	v_sub_f32_e32 v3, v5, v3
	v_mul_f32_e32 v5, 0.5, v7
	s_delay_alu instid0(VALU_DEP_4)
	v_add_co_u32 v0, s0, s8, v0
	s_wait_alu 0xf1ff
	v_add_co_ci_u32_e64 v1, s0, s9, v1, s0
	v_mul_f32_e32 v3, 0.5, v3
	global_load_b64 v[0:1], v[0:1], off offset:2320
	s_wait_loadcnt 0x0
	v_dual_mul_f32 v9, 0.5, v8 :: v_dual_mul_f32 v4, v1, v5
	s_delay_alu instid0(VALU_DEP_1) | instskip(SKIP_1) | instid1(VALU_DEP_3)
	v_fma_f32 v8, v9, v1, v3
	v_fma_f32 v1, v9, v1, -v3
	v_fma_f32 v7, 0.5, v2, v4
	v_fma_f32 v2, v2, 0.5, -v4
	s_delay_alu instid0(VALU_DEP_4) | instskip(NEXT) | instid1(VALU_DEP_4)
	v_fma_f32 v8, -v0, v5, v8
	v_fma_f32 v1, -v0, v5, v1
                                        ; implicit-def: $vgpr4_vgpr5
	s_delay_alu instid0(VALU_DEP_4) | instskip(NEXT) | instid1(VALU_DEP_4)
	v_fmac_f32_e32 v7, v0, v9
	v_fma_f32 v0, -v0, v9, v2
	v_dual_mov_b32 v2, v18 :: v_dual_mov_b32 v3, v19
.LBB0_19:
	s_wait_alu 0xfffe
	s_and_not1_saveexec_b32 s0, s1
	s_cbranch_execz .LBB0_21
; %bb.20:
	ds_load_b32 v1, v36 offset:1204
	s_wait_dscnt 0x1
	v_dual_add_f32 v7, v4, v5 :: v_dual_mov_b32 v2, 0
	v_dual_sub_f32 v0, v4, v5 :: v_dual_mov_b32 v3, 0
	v_mov_b32_e32 v8, 0
	s_wait_dscnt 0x0
	v_xor_b32_e32 v4, 0x80000000, v1
	v_mov_b32_e32 v1, 0
	ds_store_b32 v36, v4 offset:1204
.LBB0_21:
	s_wait_alu 0xfffe
	s_or_b32 exec_lo, exec_lo, s0
	v_mov_b32_e32 v23, 0
	v_lshlrev_b64_e32 v[2:3], 3, v[2:3]
	s_wait_dscnt 0x0
	s_delay_alu instid0(VALU_DEP_2) | instskip(SKIP_1) | instid1(VALU_DEP_1)
	v_lshlrev_b64_e32 v[4:5], 3, v[22:23]
	v_mov_b32_e32 v26, v23
	v_lshlrev_b64_e32 v[9:10], 3, v[25:26]
	v_mov_b32_e32 v25, v23
	s_delay_alu instid0(VALU_DEP_4) | instskip(SKIP_2) | instid1(VALU_DEP_4)
	v_add_co_u32 v4, s0, s8, v4
	s_wait_alu 0xf1ff
	v_add_co_ci_u32_e64 v5, s0, s9, v5, s0
	v_add_co_u32 v9, s0, s8, v9
	s_wait_alu 0xf1ff
	v_add_co_ci_u32_e64 v10, s0, s9, v10, s0
	global_load_b64 v[4:5], v[4:5], off offset:2320
	v_lshlrev_b64_e32 v[11:12], 3, v[24:25]
	global_load_b64 v[9:10], v[9:10], off offset:2320
	v_add_co_u32 v11, s0, s8, v11
	s_wait_alu 0xf1ff
	v_add_co_ci_u32_e64 v12, s0, s9, v12, s0
	s_add_nc_u64 s[0:1], s[8:9], 0x910
	s_wait_alu 0xfffe
	v_add_co_u32 v2, s0, s0, v2
	global_load_b64 v[11:12], v[11:12], off offset:2320
	s_wait_alu 0xf1ff
	v_add_co_ci_u32_e64 v3, s0, s1, v3, s0
	global_load_b64 v[2:3], v[2:3], off offset:960
	ds_store_2addr_b32 v37, v7, v8 offset1:1
	ds_store_b64 v6, v[0:1] offset:2400
	ds_load_b64 v[0:1], v40
	ds_load_b64 v[7:8], v6 offset:2160
	s_wait_dscnt 0x0
	v_dual_sub_f32 v13, v0, v7 :: v_dual_add_f32 v14, v1, v8
	v_dual_sub_f32 v1, v1, v8 :: v_dual_add_f32 v0, v0, v7
	s_delay_alu instid0(VALU_DEP_2) | instskip(NEXT) | instid1(VALU_DEP_2)
	v_dual_mul_f32 v8, 0.5, v13 :: v_dual_mul_f32 v13, 0.5, v14
	v_mul_f32_e32 v1, 0.5, v1
	s_wait_loadcnt 0x3
	s_delay_alu instid0(VALU_DEP_2) | instskip(NEXT) | instid1(VALU_DEP_2)
	v_mul_f32_e32 v7, v5, v8
	v_fma_f32 v14, v13, v5, v1
	v_fma_f32 v1, v13, v5, -v1
	s_delay_alu instid0(VALU_DEP_3) | instskip(SKIP_1) | instid1(VALU_DEP_4)
	v_fma_f32 v5, 0.5, v0, v7
	v_fma_f32 v0, v0, 0.5, -v7
	v_fma_f32 v7, -v4, v8, v14
	s_delay_alu instid0(VALU_DEP_4) | instskip(NEXT) | instid1(VALU_DEP_4)
	v_fma_f32 v1, -v4, v8, v1
	v_fmac_f32_e32 v5, v4, v13
	s_delay_alu instid0(VALU_DEP_4)
	v_fma_f32 v0, -v4, v13, v0
	ds_store_2addr_b32 v40, v5, v7 offset1:1
	ds_store_b64 v6, v[0:1] offset:2160
	ds_load_b64 v[0:1], v39
	ds_load_b64 v[4:5], v6 offset:1920
	s_wait_dscnt 0x0
	v_dual_sub_f32 v7, v0, v4 :: v_dual_add_f32 v8, v1, v5
	v_dual_sub_f32 v1, v1, v5 :: v_dual_add_f32 v0, v0, v4
	s_delay_alu instid0(VALU_DEP_2) | instskip(NEXT) | instid1(VALU_DEP_3)
	v_mul_f32_e32 v5, 0.5, v7
	v_mul_f32_e32 v7, 0.5, v8
	s_delay_alu instid0(VALU_DEP_3) | instskip(SKIP_1) | instid1(VALU_DEP_3)
	v_mul_f32_e32 v1, 0.5, v1
	s_wait_loadcnt 0x2
	v_mul_f32_e32 v4, v10, v5
	s_delay_alu instid0(VALU_DEP_2) | instskip(SKIP_1) | instid1(VALU_DEP_3)
	v_fma_f32 v8, v7, v10, v1
	v_fma_f32 v1, v7, v10, -v1
	v_fma_f32 v10, 0.5, v0, v4
	v_fma_f32 v0, v0, 0.5, -v4
	s_delay_alu instid0(VALU_DEP_4) | instskip(NEXT) | instid1(VALU_DEP_4)
	v_fma_f32 v4, -v9, v5, v8
	v_fma_f32 v1, -v9, v5, v1
	s_delay_alu instid0(VALU_DEP_4) | instskip(NEXT) | instid1(VALU_DEP_4)
	v_fmac_f32_e32 v10, v9, v7
	v_fma_f32 v0, -v9, v7, v0
	ds_store_2addr_b32 v39, v10, v4 offset1:1
	ds_store_b64 v6, v[0:1] offset:1920
	ds_load_b64 v[0:1], v38
	ds_load_b64 v[4:5], v6 offset:1680
	s_wait_dscnt 0x0
	v_dual_sub_f32 v7, v0, v4 :: v_dual_add_f32 v8, v1, v5
	v_dual_sub_f32 v1, v1, v5 :: v_dual_add_f32 v0, v0, v4
	s_delay_alu instid0(VALU_DEP_2) | instskip(NEXT) | instid1(VALU_DEP_3)
	v_mul_f32_e32 v5, 0.5, v7
	v_mul_f32_e32 v7, 0.5, v8
	s_delay_alu instid0(VALU_DEP_3) | instskip(SKIP_1) | instid1(VALU_DEP_3)
	v_mul_f32_e32 v1, 0.5, v1
	s_wait_loadcnt 0x1
	v_mul_f32_e32 v4, v12, v5
	s_delay_alu instid0(VALU_DEP_2) | instskip(SKIP_1) | instid1(VALU_DEP_3)
	v_fma_f32 v8, v7, v12, v1
	v_fma_f32 v1, v7, v12, -v1
	v_fma_f32 v9, 0.5, v0, v4
	v_fma_f32 v0, v0, 0.5, -v4
	s_delay_alu instid0(VALU_DEP_4) | instskip(NEXT) | instid1(VALU_DEP_4)
	v_fma_f32 v4, -v11, v5, v8
	v_fma_f32 v1, -v11, v5, v1
	s_delay_alu instid0(VALU_DEP_4) | instskip(NEXT) | instid1(VALU_DEP_4)
	v_fmac_f32_e32 v9, v11, v7
	v_fma_f32 v0, -v11, v7, v0
	ds_store_2addr_b32 v38, v9, v4 offset1:1
	ds_store_b64 v6, v[0:1] offset:1680
	ds_load_b64 v[0:1], v37 offset:960
	ds_load_b64 v[4:5], v6 offset:1440
	s_wait_dscnt 0x0
	v_dual_sub_f32 v7, v0, v4 :: v_dual_add_f32 v8, v1, v5
	v_dual_sub_f32 v1, v1, v5 :: v_dual_add_f32 v0, v0, v4
	s_delay_alu instid0(VALU_DEP_2) | instskip(NEXT) | instid1(VALU_DEP_3)
	v_mul_f32_e32 v5, 0.5, v7
	v_mul_f32_e32 v7, 0.5, v8
	s_delay_alu instid0(VALU_DEP_3) | instskip(SKIP_1) | instid1(VALU_DEP_3)
	v_mul_f32_e32 v1, 0.5, v1
	s_wait_loadcnt 0x0
	v_mul_f32_e32 v4, v3, v5
	s_delay_alu instid0(VALU_DEP_2) | instskip(SKIP_1) | instid1(VALU_DEP_3)
	v_fma_f32 v8, v7, v3, v1
	v_fma_f32 v1, v7, v3, -v1
	v_fma_f32 v3, 0.5, v0, v4
	v_fma_f32 v0, v0, 0.5, -v4
	s_delay_alu instid0(VALU_DEP_4) | instskip(NEXT) | instid1(VALU_DEP_4)
	v_fma_f32 v4, -v2, v5, v8
	v_fma_f32 v1, -v2, v5, v1
	s_delay_alu instid0(VALU_DEP_4) | instskip(NEXT) | instid1(VALU_DEP_4)
	v_fmac_f32_e32 v3, v2, v7
	v_fma_f32 v0, -v2, v7, v0
	ds_store_2addr_b32 v37, v3, v4 offset0:240 offset1:241
	ds_store_b64 v6, v[0:1] offset:1440
	global_wb scope:SCOPE_SE
	s_wait_dscnt 0x0
	s_barrier_signal -1
	s_barrier_wait -1
	global_inv scope:SCOPE_SE
	s_and_saveexec_b32 s0, vcc_lo
	s_cbranch_execz .LBB0_24
; %bb.22:
	v_mul_lo_u32 v3, s3, v20
	v_mul_lo_u32 v4, s2, v21
	v_mad_co_u64_u32 v[0:1], null, s2, v20, 0
	v_dual_mov_b32 v19, v23 :: v_dual_add_nc_u32 v22, 30, v18
	v_lshlrev_b64_e32 v[11:12], 3, v[16:17]
	v_lshl_add_u32 v2, v18, 3, v36
	s_delay_alu instid0(VALU_DEP_3)
	v_lshlrev_b64_e32 v[13:14], 3, v[18:19]
	v_add3_u32 v1, v1, v4, v3
	v_lshlrev_b64_e32 v[15:16], 3, v[22:23]
	ds_load_2addr_b64 v[3:6], v2 offset1:30
	v_add_nc_u32_e32 v22, 60, v18
	ds_load_2addr_b64 v[7:10], v2 offset0:60 offset1:90
	v_lshlrev_b64_e32 v[0:1], 3, v[0:1]
	v_lshlrev_b64_e32 v[19:20], 3, v[22:23]
	v_add_nc_u32_e32 v22, 0x5a, v18
	s_delay_alu instid0(VALU_DEP_3) | instskip(SKIP_1) | instid1(VALU_DEP_4)
	v_add_co_u32 v0, vcc_lo, s6, v0
	s_wait_alu 0xfffd
	v_add_co_ci_u32_e32 v1, vcc_lo, s7, v1, vcc_lo
	s_delay_alu instid0(VALU_DEP_2) | instskip(SKIP_1) | instid1(VALU_DEP_2)
	v_add_co_u32 v0, vcc_lo, v0, v11
	s_wait_alu 0xfffd
	v_add_co_ci_u32_e32 v1, vcc_lo, v1, v12, vcc_lo
	s_delay_alu instid0(VALU_DEP_2) | instskip(SKIP_1) | instid1(VALU_DEP_2)
	v_add_co_u32 v11, vcc_lo, v0, v13
	s_wait_alu 0xfffd
	v_add_co_ci_u32_e32 v12, vcc_lo, v1, v14, vcc_lo
	v_add_co_u32 v13, vcc_lo, v0, v15
	s_wait_alu 0xfffd
	v_add_co_ci_u32_e32 v14, vcc_lo, v1, v16, vcc_lo
	v_lshlrev_b64_e32 v[15:16], 3, v[22:23]
	v_add_nc_u32_e32 v22, 0x78, v18
	v_add_co_u32 v19, vcc_lo, v0, v19
	s_wait_alu 0xfffd
	v_add_co_ci_u32_e32 v20, vcc_lo, v1, v20, vcc_lo
	s_delay_alu instid0(VALU_DEP_3)
	v_lshlrev_b64_e32 v[24:25], 3, v[22:23]
	v_add_nc_u32_e32 v22, 0x96, v18
	v_add_co_u32 v15, vcc_lo, v0, v15
	s_wait_alu 0xfffd
	v_add_co_ci_u32_e32 v16, vcc_lo, v1, v16, vcc_lo
	s_wait_dscnt 0x1
	s_clause 0x1
	global_store_b64 v[11:12], v[3:4], off
	global_store_b64 v[13:14], v[5:6], off
	s_wait_dscnt 0x0
	s_clause 0x1
	global_store_b64 v[19:20], v[7:8], off
	global_store_b64 v[15:16], v[9:10], off
	v_lshlrev_b64_e32 v[7:8], 3, v[22:23]
	v_add_nc_u32_e32 v22, 0xb4, v18
	v_add_co_u32 v15, vcc_lo, v0, v24
	s_wait_alu 0xfffd
	v_add_co_ci_u32_e32 v16, vcc_lo, v1, v25, vcc_lo
	s_delay_alu instid0(VALU_DEP_3)
	v_lshlrev_b64_e32 v[11:12], 3, v[22:23]
	v_add_nc_u32_e32 v22, 0xd2, v18
	v_add_co_u32 v19, vcc_lo, v0, v7
	v_add_nc_u32_e32 v13, 0x400, v2
	ds_load_2addr_b64 v[3:6], v2 offset0:120 offset1:150
	v_lshlrev_b64_e32 v[24:25], 3, v[22:23]
	v_add_nc_u32_e32 v22, 0xf0, v18
	s_wait_alu 0xfffd
	v_add_co_ci_u32_e32 v20, vcc_lo, v1, v8, vcc_lo
	ds_load_2addr_b64 v[7:10], v2 offset0:180 offset1:210
	v_add_co_u32 v26, vcc_lo, v0, v11
	v_lshlrev_b64_e32 v[28:29], 3, v[22:23]
	v_add_nc_u32_e32 v22, 0x10e, v18
	s_wait_alu 0xfffd
	v_add_co_ci_u32_e32 v27, vcc_lo, v1, v12, vcc_lo
	ds_load_2addr_b64 v[11:14], v13 offset0:112 offset1:142
	v_add_co_u32 v24, vcc_lo, v0, v24
	v_lshlrev_b64_e32 v[21:22], 3, v[22:23]
	s_wait_alu 0xfffd
	v_add_co_ci_u32_e32 v25, vcc_lo, v1, v25, vcc_lo
	v_add_co_u32 v28, vcc_lo, v0, v28
	s_wait_alu 0xfffd
	v_add_co_ci_u32_e32 v29, vcc_lo, v1, v29, vcc_lo
	v_add_co_u32 v21, vcc_lo, v0, v21
	s_wait_alu 0xfffd
	v_add_co_ci_u32_e32 v22, vcc_lo, v1, v22, vcc_lo
	v_cmp_eq_u32_e32 vcc_lo, 29, v18
	s_wait_dscnt 0x2
	s_clause 0x1
	global_store_b64 v[15:16], v[3:4], off
	global_store_b64 v[19:20], v[5:6], off
	s_wait_dscnt 0x1
	s_clause 0x1
	global_store_b64 v[26:27], v[7:8], off
	global_store_b64 v[24:25], v[9:10], off
	;; [unrolled: 4-line block ×3, first 2 shown]
	s_and_b32 exec_lo, exec_lo, vcc_lo
	s_cbranch_execz .LBB0_24
; %bb.23:
	ds_load_b64 v[2:3], v2 offset:2168
	s_wait_dscnt 0x0
	global_store_b64 v[0:1], v[2:3], off offset:2400
.LBB0_24:
	s_nop 0
	s_sendmsg sendmsg(MSG_DEALLOC_VGPRS)
	s_endpgm
	.section	.rodata,"a",@progbits
	.p2align	6, 0x0
	.amdhsa_kernel fft_rtc_back_len300_factors_10_10_3_wgs_60_tpt_30_halfLds_sp_op_CI_CI_unitstride_sbrr_R2C_dirReg
		.amdhsa_group_segment_fixed_size 0
		.amdhsa_private_segment_fixed_size 0
		.amdhsa_kernarg_size 104
		.amdhsa_user_sgpr_count 2
		.amdhsa_user_sgpr_dispatch_ptr 0
		.amdhsa_user_sgpr_queue_ptr 0
		.amdhsa_user_sgpr_kernarg_segment_ptr 1
		.amdhsa_user_sgpr_dispatch_id 0
		.amdhsa_user_sgpr_private_segment_size 0
		.amdhsa_wavefront_size32 1
		.amdhsa_uses_dynamic_stack 0
		.amdhsa_enable_private_segment 0
		.amdhsa_system_sgpr_workgroup_id_x 1
		.amdhsa_system_sgpr_workgroup_id_y 0
		.amdhsa_system_sgpr_workgroup_id_z 0
		.amdhsa_system_sgpr_workgroup_info 0
		.amdhsa_system_vgpr_workitem_id 0
		.amdhsa_next_free_vgpr 69
		.amdhsa_next_free_sgpr 39
		.amdhsa_reserve_vcc 1
		.amdhsa_float_round_mode_32 0
		.amdhsa_float_round_mode_16_64 0
		.amdhsa_float_denorm_mode_32 3
		.amdhsa_float_denorm_mode_16_64 3
		.amdhsa_fp16_overflow 0
		.amdhsa_workgroup_processor_mode 1
		.amdhsa_memory_ordered 1
		.amdhsa_forward_progress 0
		.amdhsa_round_robin_scheduling 0
		.amdhsa_exception_fp_ieee_invalid_op 0
		.amdhsa_exception_fp_denorm_src 0
		.amdhsa_exception_fp_ieee_div_zero 0
		.amdhsa_exception_fp_ieee_overflow 0
		.amdhsa_exception_fp_ieee_underflow 0
		.amdhsa_exception_fp_ieee_inexact 0
		.amdhsa_exception_int_div_zero 0
	.end_amdhsa_kernel
	.text
.Lfunc_end0:
	.size	fft_rtc_back_len300_factors_10_10_3_wgs_60_tpt_30_halfLds_sp_op_CI_CI_unitstride_sbrr_R2C_dirReg, .Lfunc_end0-fft_rtc_back_len300_factors_10_10_3_wgs_60_tpt_30_halfLds_sp_op_CI_CI_unitstride_sbrr_R2C_dirReg
                                        ; -- End function
	.section	.AMDGPU.csdata,"",@progbits
; Kernel info:
; codeLenInByte = 7152
; NumSgprs: 41
; NumVgprs: 69
; ScratchSize: 0
; MemoryBound: 0
; FloatMode: 240
; IeeeMode: 1
; LDSByteSize: 0 bytes/workgroup (compile time only)
; SGPRBlocks: 5
; VGPRBlocks: 8
; NumSGPRsForWavesPerEU: 41
; NumVGPRsForWavesPerEU: 69
; Occupancy: 16
; WaveLimiterHint : 1
; COMPUTE_PGM_RSRC2:SCRATCH_EN: 0
; COMPUTE_PGM_RSRC2:USER_SGPR: 2
; COMPUTE_PGM_RSRC2:TRAP_HANDLER: 0
; COMPUTE_PGM_RSRC2:TGID_X_EN: 1
; COMPUTE_PGM_RSRC2:TGID_Y_EN: 0
; COMPUTE_PGM_RSRC2:TGID_Z_EN: 0
; COMPUTE_PGM_RSRC2:TIDIG_COMP_CNT: 0
	.text
	.p2alignl 7, 3214868480
	.fill 96, 4, 3214868480
	.type	__hip_cuid_71e51ef8725cea1d,@object ; @__hip_cuid_71e51ef8725cea1d
	.section	.bss,"aw",@nobits
	.globl	__hip_cuid_71e51ef8725cea1d
__hip_cuid_71e51ef8725cea1d:
	.byte	0                               ; 0x0
	.size	__hip_cuid_71e51ef8725cea1d, 1

	.ident	"AMD clang version 19.0.0git (https://github.com/RadeonOpenCompute/llvm-project roc-6.4.0 25133 c7fe45cf4b819c5991fe208aaa96edf142730f1d)"
	.section	".note.GNU-stack","",@progbits
	.addrsig
	.addrsig_sym __hip_cuid_71e51ef8725cea1d
	.amdgpu_metadata
---
amdhsa.kernels:
  - .args:
      - .actual_access:  read_only
        .address_space:  global
        .offset:         0
        .size:           8
        .value_kind:     global_buffer
      - .offset:         8
        .size:           8
        .value_kind:     by_value
      - .actual_access:  read_only
        .address_space:  global
        .offset:         16
        .size:           8
        .value_kind:     global_buffer
      - .actual_access:  read_only
        .address_space:  global
        .offset:         24
        .size:           8
        .value_kind:     global_buffer
      - .actual_access:  read_only
        .address_space:  global
        .offset:         32
        .size:           8
        .value_kind:     global_buffer
      - .offset:         40
        .size:           8
        .value_kind:     by_value
      - .actual_access:  read_only
        .address_space:  global
        .offset:         48
        .size:           8
        .value_kind:     global_buffer
      - .actual_access:  read_only
        .address_space:  global
        .offset:         56
        .size:           8
        .value_kind:     global_buffer
      - .offset:         64
        .size:           4
        .value_kind:     by_value
      - .actual_access:  read_only
        .address_space:  global
        .offset:         72
        .size:           8
        .value_kind:     global_buffer
      - .actual_access:  read_only
        .address_space:  global
        .offset:         80
        .size:           8
        .value_kind:     global_buffer
      - .actual_access:  read_only
        .address_space:  global
        .offset:         88
        .size:           8
        .value_kind:     global_buffer
      - .actual_access:  write_only
        .address_space:  global
        .offset:         96
        .size:           8
        .value_kind:     global_buffer
    .group_segment_fixed_size: 0
    .kernarg_segment_align: 8
    .kernarg_segment_size: 104
    .language:       OpenCL C
    .language_version:
      - 2
      - 0
    .max_flat_workgroup_size: 60
    .name:           fft_rtc_back_len300_factors_10_10_3_wgs_60_tpt_30_halfLds_sp_op_CI_CI_unitstride_sbrr_R2C_dirReg
    .private_segment_fixed_size: 0
    .sgpr_count:     41
    .sgpr_spill_count: 0
    .symbol:         fft_rtc_back_len300_factors_10_10_3_wgs_60_tpt_30_halfLds_sp_op_CI_CI_unitstride_sbrr_R2C_dirReg.kd
    .uniform_work_group_size: 1
    .uses_dynamic_stack: false
    .vgpr_count:     69
    .vgpr_spill_count: 0
    .wavefront_size: 32
    .workgroup_processor_mode: 1
amdhsa.target:   amdgcn-amd-amdhsa--gfx1201
amdhsa.version:
  - 1
  - 2
...

	.end_amdgpu_metadata
